;; amdgpu-corpus repo=ROCm/rocFFT kind=compiled arch=gfx950 opt=O3
	.text
	.amdgcn_target "amdgcn-amd-amdhsa--gfx950"
	.amdhsa_code_object_version 6
	.protected	fft_rtc_fwd_len26_factors_13_2_wgs_64_tpt_2_halfLds_sp_op_CI_CI_sbrr_dirReg ; -- Begin function fft_rtc_fwd_len26_factors_13_2_wgs_64_tpt_2_halfLds_sp_op_CI_CI_sbrr_dirReg
	.globl	fft_rtc_fwd_len26_factors_13_2_wgs_64_tpt_2_halfLds_sp_op_CI_CI_sbrr_dirReg
	.p2align	8
	.type	fft_rtc_fwd_len26_factors_13_2_wgs_64_tpt_2_halfLds_sp_op_CI_CI_sbrr_dirReg,@function
fft_rtc_fwd_len26_factors_13_2_wgs_64_tpt_2_halfLds_sp_op_CI_CI_sbrr_dirReg: ; @fft_rtc_fwd_len26_factors_13_2_wgs_64_tpt_2_halfLds_sp_op_CI_CI_sbrr_dirReg
; %bb.0:
	s_load_dwordx4 s[12:15], s[0:1], 0x18
	s_load_dwordx4 s[4:7], s[0:1], 0x0
	;; [unrolled: 1-line block ×3, first 2 shown]
	v_lshrrev_b32_e32 v11, 1, v0
	v_lshl_or_b32 v8, s2, 5, v11
	s_waitcnt lgkmcnt(0)
	s_load_dwordx2 s[18:19], s[12:13], 0x0
	s_load_dwordx2 s[16:17], s[14:15], 0x0
	v_mov_b32_e32 v4, 0
	v_cmp_lt_u64_e64 s[2:3], s[6:7], 2
	v_mov_b32_e32 v9, v4
	s_and_b64 vcc, exec, s[2:3]
	v_mov_b64_e32 v[30:31], 0
	s_cbranch_vccnz .LBB0_8
; %bb.1:
	s_load_dwordx2 s[2:3], s[0:1], 0x10
	s_add_u32 s20, s14, 8
	s_addc_u32 s21, s15, 0
	s_add_u32 s22, s12, 8
	s_addc_u32 s23, s13, 0
	s_waitcnt lgkmcnt(0)
	s_add_u32 s24, s2, 8
	v_mov_b64_e32 v[30:31], 0
	s_addc_u32 s25, s3, 0
	s_mov_b64 s[26:27], 1
	v_mov_b64_e32 v[2:3], v[30:31]
.LBB0_2:                                ; =>This Inner Loop Header: Depth=1
	s_load_dwordx2 s[28:29], s[24:25], 0x0
                                        ; implicit-def: $vgpr6_vgpr7
	s_waitcnt lgkmcnt(0)
	v_or_b32_e32 v5, s29, v9
	v_cmp_ne_u64_e32 vcc, 0, v[4:5]
	s_and_saveexec_b64 s[2:3], vcc
	s_xor_b64 s[30:31], exec, s[2:3]
	s_cbranch_execz .LBB0_4
; %bb.3:                                ;   in Loop: Header=BB0_2 Depth=1
	v_cvt_f32_u32_e32 v1, s28
	v_cvt_f32_u32_e32 v5, s29
	s_sub_u32 s2, 0, s28
	s_subb_u32 s3, 0, s29
	v_fmac_f32_e32 v1, 0x4f800000, v5
	v_rcp_f32_e32 v1, v1
	s_nop 0
	v_mul_f32_e32 v1, 0x5f7ffffc, v1
	v_mul_f32_e32 v5, 0x2f800000, v1
	v_trunc_f32_e32 v5, v5
	v_fmac_f32_e32 v1, 0xcf800000, v5
	v_cvt_u32_f32_e32 v5, v5
	v_cvt_u32_f32_e32 v1, v1
	v_mul_lo_u32 v6, s2, v5
	v_mul_hi_u32 v10, s2, v1
	v_mul_lo_u32 v7, s3, v1
	v_add_u32_e32 v10, v10, v6
	v_mul_lo_u32 v14, s2, v1
	v_add_u32_e32 v10, v10, v7
	v_mul_hi_u32 v6, v1, v14
	v_mul_hi_u32 v13, v1, v10
	v_mul_lo_u32 v12, v1, v10
	v_mov_b32_e32 v7, v4
	v_lshl_add_u64 v[6:7], v[6:7], 0, v[12:13]
	v_mul_hi_u32 v13, v5, v14
	v_mul_lo_u32 v14, v5, v14
	v_add_co_u32_e32 v6, vcc, v6, v14
	v_mul_hi_u32 v12, v5, v10
	s_nop 0
	v_addc_co_u32_e32 v6, vcc, v7, v13, vcc
	v_mov_b32_e32 v7, v4
	s_nop 0
	v_addc_co_u32_e32 v13, vcc, 0, v12, vcc
	v_mul_lo_u32 v12, v5, v10
	v_lshl_add_u64 v[6:7], v[6:7], 0, v[12:13]
	v_add_co_u32_e32 v1, vcc, v1, v6
	v_mul_lo_u32 v12, s2, v1
	s_nop 0
	v_addc_co_u32_e32 v5, vcc, v5, v7, vcc
	v_mul_lo_u32 v6, s2, v5
	v_mul_hi_u32 v7, s2, v1
	v_add_u32_e32 v6, v7, v6
	v_mul_lo_u32 v7, s3, v1
	v_add_u32_e32 v10, v6, v7
	v_mul_hi_u32 v15, v5, v12
	v_mul_lo_u32 v16, v5, v12
	v_mul_hi_u32 v7, v1, v10
	v_mul_lo_u32 v6, v1, v10
	v_mul_hi_u32 v12, v1, v12
	v_mov_b32_e32 v13, v4
	v_lshl_add_u64 v[6:7], v[12:13], 0, v[6:7]
	v_add_co_u32_e32 v6, vcc, v6, v16
	v_mul_hi_u32 v14, v5, v10
	s_nop 0
	v_addc_co_u32_e32 v6, vcc, v7, v15, vcc
	v_mul_lo_u32 v12, v5, v10
	s_nop 0
	v_addc_co_u32_e32 v13, vcc, 0, v14, vcc
	v_mov_b32_e32 v7, v4
	v_lshl_add_u64 v[6:7], v[6:7], 0, v[12:13]
	v_add_co_u32_e32 v1, vcc, v1, v6
	v_mul_hi_u32 v12, v8, v1
	s_nop 0
	v_addc_co_u32_e32 v5, vcc, v5, v7, vcc
	v_mad_u64_u32 v[6:7], s[2:3], v8, v5, 0
	v_mov_b32_e32 v13, v4
	v_lshl_add_u64 v[6:7], v[12:13], 0, v[6:7]
	v_mad_u64_u32 v[14:15], s[2:3], v9, v1, 0
	v_add_co_u32_e32 v1, vcc, v6, v14
	v_mad_u64_u32 v[12:13], s[2:3], v9, v5, 0
	s_nop 0
	v_addc_co_u32_e32 v6, vcc, v7, v15, vcc
	v_mov_b32_e32 v7, v4
	s_nop 0
	v_addc_co_u32_e32 v13, vcc, 0, v13, vcc
	v_lshl_add_u64 v[6:7], v[6:7], 0, v[12:13]
	v_mul_lo_u32 v1, s29, v6
	v_mul_lo_u32 v5, s28, v7
	v_mad_u64_u32 v[12:13], s[2:3], s28, v6, 0
	v_add3_u32 v1, v13, v5, v1
	v_sub_u32_e32 v5, v9, v1
	v_mov_b32_e32 v10, s29
	v_sub_co_u32_e32 v16, vcc, v8, v12
	v_lshl_add_u64 v[14:15], v[6:7], 0, 1
	s_nop 0
	v_subb_co_u32_e64 v5, s[2:3], v5, v10, vcc
	v_subrev_co_u32_e64 v10, s[2:3], s28, v16
	v_subb_co_u32_e32 v1, vcc, v9, v1, vcc
	s_nop 0
	v_subbrev_co_u32_e64 v5, s[2:3], 0, v5, s[2:3]
	v_cmp_le_u32_e64 s[2:3], s29, v5
	v_cmp_le_u32_e32 vcc, s29, v1
	s_nop 0
	v_cndmask_b32_e64 v12, 0, -1, s[2:3]
	v_cmp_le_u32_e64 s[2:3], s28, v10
	s_nop 1
	v_cndmask_b32_e64 v10, 0, -1, s[2:3]
	v_cmp_eq_u32_e64 s[2:3], s29, v5
	s_nop 1
	v_cndmask_b32_e64 v5, v12, v10, s[2:3]
	v_lshl_add_u64 v[12:13], v[6:7], 0, 2
	v_cmp_ne_u32_e64 s[2:3], 0, v5
	v_cndmask_b32_e64 v10, 0, -1, vcc
	v_cmp_le_u32_e32 vcc, s28, v16
	v_cndmask_b32_e64 v5, v15, v13, s[2:3]
	s_nop 0
	v_cndmask_b32_e64 v13, 0, -1, vcc
	v_cmp_eq_u32_e32 vcc, s29, v1
	s_nop 1
	v_cndmask_b32_e32 v1, v10, v13, vcc
	v_cmp_ne_u32_e32 vcc, 0, v1
	v_cndmask_b32_e64 v1, v14, v12, s[2:3]
	s_nop 0
	v_cndmask_b32_e32 v7, v7, v5, vcc
	v_cndmask_b32_e32 v6, v6, v1, vcc
.LBB0_4:                                ;   in Loop: Header=BB0_2 Depth=1
	s_andn2_saveexec_b64 s[2:3], s[30:31]
	s_cbranch_execz .LBB0_6
; %bb.5:                                ;   in Loop: Header=BB0_2 Depth=1
	v_cvt_f32_u32_e32 v1, s28
	s_sub_i32 s30, 0, s28
	v_rcp_iflag_f32_e32 v1, v1
	s_nop 0
	v_mul_f32_e32 v1, 0x4f7ffffe, v1
	v_cvt_u32_f32_e32 v1, v1
	v_mul_lo_u32 v5, s30, v1
	v_mul_hi_u32 v5, v1, v5
	v_add_u32_e32 v1, v1, v5
	v_mul_hi_u32 v1, v8, v1
	v_mul_lo_u32 v5, v1, s28
	v_sub_u32_e32 v5, v8, v5
	v_add_u32_e32 v6, 1, v1
	v_subrev_u32_e32 v7, s28, v5
	v_cmp_le_u32_e32 vcc, s28, v5
	s_nop 1
	v_cndmask_b32_e32 v5, v5, v7, vcc
	v_cndmask_b32_e32 v1, v1, v6, vcc
	v_add_u32_e32 v6, 1, v1
	v_cmp_le_u32_e32 vcc, s28, v5
	v_mov_b32_e32 v7, v4
	s_nop 0
	v_cndmask_b32_e32 v6, v1, v6, vcc
.LBB0_6:                                ;   in Loop: Header=BB0_2 Depth=1
	s_or_b64 exec, exec, s[2:3]
	v_mad_u64_u32 v[12:13], s[2:3], v6, s28, 0
	s_load_dwordx2 s[2:3], s[22:23], 0x0
	v_mul_lo_u32 v1, v7, s28
	v_mul_lo_u32 v5, v6, s29
	s_load_dwordx2 s[28:29], s[20:21], 0x0
	s_add_u32 s26, s26, 1
	v_add3_u32 v1, v13, v5, v1
	v_sub_co_u32_e32 v5, vcc, v8, v12
	s_addc_u32 s27, s27, 0
	s_nop 0
	v_subb_co_u32_e32 v1, vcc, v9, v1, vcc
	s_add_u32 s20, s20, 8
	s_waitcnt lgkmcnt(0)
	v_mul_lo_u32 v8, s2, v1
	v_mul_lo_u32 v9, s3, v5
	v_mad_u64_u32 v[30:31], s[2:3], s2, v5, v[30:31]
	s_addc_u32 s21, s21, 0
	v_add3_u32 v31, v9, v31, v8
	v_mul_lo_u32 v1, s28, v1
	v_mul_lo_u32 v8, s29, v5
	v_mad_u64_u32 v[2:3], s[2:3], s28, v5, v[2:3]
	s_add_u32 s22, s22, 8
	v_add3_u32 v3, v8, v3, v1
	s_addc_u32 s23, s23, 0
	v_mov_b64_e32 v[8:9], s[6:7]
	s_add_u32 s24, s24, 8
	v_cmp_ge_u64_e32 vcc, s[26:27], v[8:9]
	s_addc_u32 s25, s25, 0
	s_cbranch_vccnz .LBB0_9
; %bb.7:                                ;   in Loop: Header=BB0_2 Depth=1
	v_mov_b64_e32 v[8:9], v[6:7]
	s_branch .LBB0_2
.LBB0_8:
	v_mov_b64_e32 v[2:3], v[30:31]
	v_mov_b64_e32 v[6:7], v[8:9]
.LBB0_9:
	s_load_dwordx2 s[0:1], s[0:1], 0x28
	s_lshl_b64 s[6:7], s[6:7], 3
	s_add_u32 s2, s14, s6
	s_addc_u32 s3, s15, s7
	v_and_b32_e32 v4, 1, v0
	s_waitcnt lgkmcnt(0)
	v_cmp_gt_u64_e32 vcc, s[0:1], v[6:7]
	v_cmp_le_u64_e64 s[0:1], s[0:1], v[6:7]
                                        ; implicit-def: $sgpr14_sgpr15
                                        ; implicit-def: $vgpr16
                                        ; implicit-def: $vgpr10
                                        ; implicit-def: $vgpr8
                                        ; implicit-def: $vgpr12
                                        ; implicit-def: $vgpr14
	s_and_saveexec_b64 s[20:21], s[0:1]
	s_xor_b64 s[0:1], exec, s[20:21]
; %bb.10:
	v_and_b32_e32 v4, 1, v0
	v_or_b32_e32 v16, 2, v4
	v_or_b32_e32 v10, 4, v4
	;; [unrolled: 1-line block ×5, first 2 shown]
	s_mov_b64 s[14:15], 0
                                        ; implicit-def: $vgpr30_vgpr31
; %bb.11:
	s_or_saveexec_b64 s[0:1], s[0:1]
	v_mov_b64_e32 v[0:1], s[14:15]
                                        ; implicit-def: $vgpr44
                                        ; implicit-def: $vgpr24
                                        ; implicit-def: $vgpr18
                                        ; implicit-def: $vgpr28
                                        ; implicit-def: $vgpr32
                                        ; implicit-def: $vgpr20
                                        ; implicit-def: $vgpr36
                                        ; implicit-def: $vgpr38
                                        ; implicit-def: $vgpr22
                                        ; implicit-def: $vgpr26
                                        ; implicit-def: $vgpr40
                                        ; implicit-def: $vgpr34
	s_xor_b64 exec, exec, s[0:1]
	s_cbranch_execz .LBB0_13
; %bb.12:
	s_add_u32 s6, s12, s6
	s_addc_u32 s7, s13, s7
	s_load_dwordx2 s[6:7], s[6:7], 0x0
	v_mul_lo_u32 v1, s19, v4
	v_or_b32_e32 v16, 2, v4
	v_or_b32_e32 v10, 4, v4
	s_waitcnt lgkmcnt(0)
	v_mul_lo_u32 v0, s7, v6
	v_mul_lo_u32 v5, s6, v7
	v_mad_u64_u32 v[8:9], s[6:7], s6, v6, 0
	v_add3_u32 v9, v9, v5, v0
	v_lshl_add_u64 v[8:9], v[8:9], 3, s[8:9]
	v_mul_lo_u32 v0, s18, v4
	v_lshl_add_u64 v[22:23], v[30:31], 3, v[8:9]
	v_lshl_add_u64 v[12:13], v[0:1], 3, v[22:23]
	v_mad_u64_u32 v[0:1], s[6:7], s18, v16, 0
	v_mov_b32_e32 v8, v1
	v_mad_u64_u32 v[8:9], s[6:7], s19, v16, v[8:9]
	v_mov_b32_e32 v1, v8
	v_lshl_add_u64 v[14:15], v[0:1], 3, v[22:23]
	v_mad_u64_u32 v[0:1], s[6:7], s18, v10, 0
	v_mov_b32_e32 v8, v1
	v_mad_u64_u32 v[8:9], s[6:7], s19, v10, v[8:9]
	v_mov_b32_e32 v1, v8
	v_or_b32_e32 v8, 6, v4
	v_lshl_add_u64 v[20:21], v[0:1], 3, v[22:23]
	v_mad_u64_u32 v[0:1], s[6:7], s18, v8, 0
	v_mov_b32_e32 v18, v1
	v_mad_u64_u32 v[18:19], s[6:7], s19, v8, v[18:19]
	v_mov_b32_e32 v1, v18
	v_lshl_add_u64 v[24:25], v[0:1], 3, v[22:23]
	global_load_dwordx2 v[0:1], v[12:13], off
	global_load_dwordx2 v[30:31], v[14:15], off
	global_load_dwordx2 v[18:19], v[20:21], off
	global_load_dwordx2 v[28:29], v[24:25], off
	v_or_b32_e32 v12, 8, v4
	v_mad_u64_u32 v[14:15], s[6:7], s18, v12, 0
	v_mov_b32_e32 v20, v15
	v_mad_u64_u32 v[20:21], s[6:7], s19, v12, v[20:21]
	v_mov_b32_e32 v15, v20
	v_lshl_add_u64 v[26:27], v[14:15], 3, v[22:23]
	v_or_b32_e32 v14, 10, v4
	v_mad_u64_u32 v[20:21], s[6:7], s18, v14, 0
	v_mov_b32_e32 v24, v21
	v_mad_u64_u32 v[24:25], s[6:7], s19, v14, v[24:25]
	v_mov_b32_e32 v21, v24
	v_or_b32_e32 v5, 12, v4
	v_lshl_add_u64 v[36:37], v[20:21], 3, v[22:23]
	v_mad_u64_u32 v[20:21], s[6:7], s18, v5, 0
	v_mov_b32_e32 v24, v21
	v_mad_u64_u32 v[24:25], s[6:7], s19, v5, v[24:25]
	v_mov_b32_e32 v21, v24
	v_or_b32_e32 v5, 14, v4
	v_lshl_add_u64 v[38:39], v[20:21], 3, v[22:23]
	;; [unrolled: 6-line block ×3, first 2 shown]
	global_load_dwordx2 v[24:25], v[26:27], off
	global_load_dwordx2 v[32:33], v[36:37], off
	;; [unrolled: 1-line block ×4, first 2 shown]
	v_mad_u64_u32 v[26:27], s[6:7], s18, v5, 0
	v_mov_b32_e32 v36, v27
	v_mad_u64_u32 v[36:37], s[6:7], s19, v5, v[36:37]
	v_mov_b32_e32 v27, v36
	v_or_b32_e32 v5, 18, v4
	v_lshl_add_u64 v[42:43], v[26:27], 3, v[22:23]
	v_mad_u64_u32 v[26:27], s[6:7], s18, v5, 0
	v_mov_b32_e32 v36, v27
	v_mad_u64_u32 v[36:37], s[6:7], s19, v5, v[36:37]
	v_mov_b32_e32 v27, v36
	v_or_b32_e32 v5, 20, v4
	v_lshl_add_u64 v[44:45], v[26:27], 3, v[22:23]
	;; [unrolled: 6-line block ×4, first 2 shown]
	global_load_dwordx2 v[36:37], v[42:43], off
	global_load_dwordx2 v[40:41], v[44:45], off
	;; [unrolled: 1-line block ×4, first 2 shown]
	v_mad_u64_u32 v[42:43], s[6:7], s18, v5, 0
	v_mov_b32_e32 v44, v43
	v_mad_u64_u32 v[44:45], s[6:7], s19, v5, v[44:45]
	v_mov_b32_e32 v43, v44
	v_lshl_add_u64 v[22:23], v[42:43], 3, v[22:23]
	global_load_dwordx2 v[22:23], v[22:23], off
	s_waitcnt vmcnt(11)
	v_mov_b32_e32 v45, v31
	s_waitcnt vmcnt(8)
	v_mov_b32_e32 v44, v25
	v_mov_b32_e32 v25, v30
.LBB0_13:
	s_or_b64 exec, exec, s[0:1]
	v_add_f32_e32 v5, v25, v0
	v_add_f32_e32 v5, v18, v5
	;; [unrolled: 1-line block ×3, first 2 shown]
	s_mov_b32 s12, 0xbf3f9e67
	s_mov_b32 s14, 0xbeb58ec6
	s_waitcnt vmcnt(0)
	v_mov_b32_e32 v53, v22
	s_mov_b32 s22, 0x3df6dbef
	s_mov_b32 s13, 0xbf29c268
	;; [unrolled: 1-line block ×3, first 2 shown]
	v_pk_add_f32 v[52:53], v[24:25], v[52:53]
	s_mov_b32 s34, s14
	s_mov_b32 s35, s12
	v_pk_add_f32 v[30:31], v[44:45], v[22:23] neg_lo:[0,1] neg_hi:[0,1]
	v_pk_add_f32 v[42:43], v[18:19], v[26:27]
	s_mov_b32 s18, 0x3f116cb1
	s_mov_b32 s7, 0x3f62ad3f
	;; [unrolled: 1-line block ×9, first 2 shown]
	v_pk_mul_f32 v[66:67], v[52:53], s[34:35] op_sel:[1,0]
	v_pk_add_f32 v[46:47], v[18:19], v[26:27] neg_lo:[0,1] neg_hi:[0,1]
	s_mov_b32 s19, 0xbf52af12
	s_mov_b32 s9, 0x3eedf032
	v_pk_add_f32 v[50:51], v[28:29], v[38:39]
	v_pk_mul_f32 v[54:55], v[42:43], s[24:25] op_sel_hi:[0,1]
	s_mov_b32 s30, s8
	s_mov_b32 s31, s20
	;; [unrolled: 1-line block ×4, first 2 shown]
	v_pk_fma_f32 v[58:59], v[30:31], s[28:29], v[66:67] op_sel:[1,0,0]
	v_pk_add_f32 v[48:49], v[28:29], v[38:39] neg_lo:[0,1] neg_hi:[0,1]
	v_pk_fma_f32 v[56:57], v[46:47], s[30:31], v[54:55] op_sel:[1,0,0]
	v_pk_add_f32 v[58:59], v[58:59], v[0:1] op_sel_hi:[1,0]
	v_pk_mul_f32 v[68:69], v[50:51], s[26:27] op_sel_hi:[0,1]
	s_mov_b32 s40, s9
	s_mov_b32 s41, s19
	v_pk_add_f32 v[56:57], v[56:57], v[58:59]
	v_pk_fma_f32 v[58:59], v[48:49], s[40:41], v[68:69] op_sel:[1,0,0]
	s_mov_b32 s50, 0xbf788fa5
	v_pk_add_f32 v[56:57], v[58:59], v[56:57]
	v_mov_b32_e32 v58, v24
	v_mov_b32_e32 v59, v44
	s_mov_b32 s51, 0xbe750f2a
	v_pk_add_f32 v[70:71], v[58:59], v[40:41]
	s_mov_b32 s36, s22
	s_mov_b32 s37, s50
	v_pk_add_f32 v[72:73], v[58:59], v[40:41] neg_lo:[0,1] neg_hi:[0,1]
	s_mov_b32 s45, 0x3e750f2a
	s_mov_b32 s44, s23
	v_pk_mul_f32 v[74:75], v[70:71], s[36:37] op_sel_hi:[0,1]
	v_pk_fma_f32 v[58:59], v[72:73], s[44:45], v[74:75] op_sel:[1,0,0]
	s_mov_b32 s38, s50
	v_pk_add_f32 v[58:59], v[58:59], v[56:57]
	s_mov_b32 s39, s7
	v_pk_add_f32 v[56:57], v[32:33], v[36:37]
	s_mov_b32 s46, s45
	s_mov_b32 s47, s9
	v_pk_add_f32 v[62:63], v[32:33], v[36:37] neg_lo:[0,1] neg_hi:[0,1]
	v_pk_mul_f32 v[76:77], v[56:57], s[38:39] op_sel_hi:[0,1]
	v_pk_fma_f32 v[60:61], v[62:63], s[46:47], v[76:77] op_sel:[1,0,0]
	s_mov_b32 s42, s18
	v_pk_add_f32 v[64:65], v[60:61], v[58:59]
	s_mov_b32 s43, s14
	v_pk_add_f32 v[58:59], v[20:21], v[34:35]
	s_mov_b32 s48, 0x3f52af12
	s_mov_b32 s49, s15
	v_pk_add_f32 v[60:61], v[20:21], v[34:35] neg_lo:[0,1] neg_hi:[0,1]
	v_pk_mul_f32 v[78:79], v[58:59], s[42:43] op_sel_hi:[0,1]
	v_mul_u32_u24_e32 v5, 26, v11
	v_pk_fma_f32 v[80:81], v[60:61], s[48:49], v[78:79] op_sel:[1,0,0]
	v_lshl_add_u32 v5, v5, 2, 0
	v_pk_add_f32 v[64:65], v[80:81], v[64:65]
	v_mad_u32_u24 v9, v4, 52, v5
	ds_write2_b32 v9, v65, v64 offset0:8 offset1:9
	v_mov_b32_e32 v64, v42
	v_mov_b32_e32 v65, v47
	v_pk_mul_f32 v[80:81], v[64:65], s[18:19]
	v_mul_f32_e32 v101, 0xbeedf032, v31
	v_mov_b32_e32 v11, v80
	v_pk_fma_f32 v[82:83], v[64:65], s[18:19], v[10:11] neg_lo:[1,0,0] neg_hi:[1,0,0]
	v_mov_b32_e32 v64, v50
	v_mov_b32_e32 v65, v49
	v_pk_mul_f32 v[84:85], v[64:65], s[22:23]
	v_mov_b32_e32 v100, v20
	v_mov_b32_e32 v11, v84
	v_pk_fma_f32 v[86:87], v[64:65], s[22:23], v[10:11] neg_lo:[1,0,0] neg_hi:[1,0,0]
	v_mov_b32_e32 v64, v70
	v_mov_b32_e32 v65, v73
	v_pk_mul_f32 v[88:89], v[64:65], s[14:15]
	v_pk_add_f32 v[102:103], v[32:33], v[52:53]
	v_mov_b32_e32 v11, v88
	v_pk_fma_f32 v[90:91], v[64:65], s[14:15], v[10:11] neg_lo:[1,0,0] neg_hi:[1,0,0]
	v_mov_b32_e32 v64, v56
	v_mov_b32_e32 v65, v63
	v_pk_mul_f32 v[92:93], v[64:65], s[12:13]
	v_pk_add_f32 v[102:103], v[102:103], v[20:21]
	v_mov_b32_e32 v11, v92
	v_pk_fma_f32 v[94:95], v[64:65], s[12:13], v[10:11] neg_lo:[1,0,0] neg_hi:[1,0,0]
	v_mov_b32_e32 v64, v58
	v_mov_b32_e32 v65, v61
	v_pk_mul_f32 v[96:97], v[64:65], s[50:51]
	v_mov_b32_e32 v82, v36
	v_mov_b32_e32 v11, v96
	v_pk_fma_f32 v[98:99], v[64:65], s[50:51], v[10:11] neg_lo:[1,0,0] neg_hi:[1,0,0]
	v_mov_b32_e32 v65, 0x3f62ad3f
	v_mov_b32_e32 v64, v32
	v_pk_fma_f32 v[100:101], v[64:65], v[52:53], v[100:101] neg_lo:[0,0,1] neg_hi:[0,0,1]
	v_mov_b32_e32 v86, v40
	v_mov_b32_e32 v103, v101
	;; [unrolled: 1-line block ×4, first 2 shown]
	v_pk_add_f32 v[100:101], v[100:101], v[102:103]
	v_pk_fma_f32 v[66:67], v[30:31], s[28:29], v[66:67] op_sel:[1,0,0] neg_lo:[1,0,0] neg_hi:[1,0,0]
	v_pk_add_f32 v[82:83], v[82:83], v[100:101]
	v_mov_b32_e32 v90, v38
	v_pk_add_f32 v[82:83], v[86:87], v[82:83]
	v_pk_fma_f32 v[54:55], v[46:47], s[30:31], v[54:55] op_sel:[1,0,0] neg_lo:[1,0,0] neg_hi:[1,0,0]
	v_pk_add_f32 v[66:67], v[66:67], v[0:1] op_sel_hi:[1,0]
	v_pk_add_f32 v[82:83], v[90:91], v[82:83]
	v_mov_b32_e32 v94, v26
	v_pk_add_f32 v[54:55], v[54:55], v[66:67]
	v_pk_fma_f32 v[66:67], v[48:49], s[40:41], v[68:69] op_sel:[1,0,0] neg_lo:[1,0,0] neg_hi:[1,0,0]
	v_pk_add_f32 v[82:83], v[94:95], v[82:83]
	v_mov_b32_e32 v98, v22
	v_pk_add_f32 v[54:55], v[66:67], v[54:55]
	v_pk_fma_f32 v[66:67], v[72:73], s[44:45], v[74:75] op_sel:[1,0,0] neg_lo:[1,0,0] neg_hi:[1,0,0]
	v_pk_add_f32 v[82:83], v[98:99], v[82:83]
	s_mov_b32 s54, s18
	s_mov_b32 s55, s22
	v_pk_add_f32 v[54:55], v[66:67], v[54:55]
	v_pk_fma_f32 v[66:67], v[62:63], s[46:47], v[76:77] op_sel:[1,0,0] neg_lo:[1,0,0] neg_hi:[1,0,0]
	ds_write2_b32 v9, v82, v83 offset1:1
	s_mov_b32 s60, s19
	s_mov_b32 s61, s23
	;; [unrolled: 1-line block ×4, first 2 shown]
	v_pk_mul_f32 v[82:83], v[52:53], s[54:55] op_sel:[1,0]
	v_pk_add_f32 v[54:55], v[66:67], v[54:55]
	v_pk_fma_f32 v[66:67], v[60:61], s[48:49], v[78:79] op_sel:[1,0,0] neg_lo:[1,0,0] neg_hi:[1,0,0]
	s_mov_b32 s62, s15
	s_mov_b32 s63, s51
	v_pk_fma_f32 v[86:87], v[30:31], s[60:61], v[82:83] op_sel:[1,0,0] neg_lo:[1,0,0] neg_hi:[1,0,0]
	v_pk_mul_f32 v[90:91], v[42:43], s[52:53] op_sel_hi:[0,1]
	v_pk_add_f32 v[54:55], v[66:67], v[54:55]
	v_mul_f32_e32 v20, 0x3f62ad3f, v42
	v_mul_f32_e32 v32, 0x3eedf032, v47
	v_pk_add_f32 v[86:87], v[86:87], v[0:1] op_sel_hi:[1,0]
	v_pk_fma_f32 v[94:95], v[46:47], s[62:63], v[90:91] op_sel:[1,0,0] neg_lo:[1,0,0] neg_hi:[1,0,0]
	s_mov_b32 s56, s50
	s_mov_b32 s57, s14
	ds_write2_b32 v9, v54, v55 offset0:4 offset1:5
	v_pk_add_f32 v[54:55], v[20:21], v[32:33] neg_lo:[0,1] neg_hi:[0,1]
	v_pk_add_f32 v[66:67], v[20:21], v[32:33]
	v_mul_f32_e32 v20, 0xbf3f9e67, v50
	v_mul_f32_e32 v32, 0xbf29c268, v49
	v_pk_add_f32 v[86:87], v[94:95], v[86:87]
	s_mov_b32 s67, 0x3f6f5d39
	s_mov_b32 s66, s51
	v_pk_mul_f32 v[94:95], v[50:51], s[56:57] op_sel_hi:[0,1]
	v_mov_b32_e32 v55, v66
	v_pk_add_f32 v[50:51], v[20:21], v[32:33] neg_lo:[0,1] neg_hi:[0,1]
	v_pk_add_f32 v[66:67], v[20:21], v[32:33]
	v_mul_f32_e32 v20, 0x3f116cb1, v70
	v_mul_f32_e32 v32, 0x3f52af12, v73
	v_pk_fma_f32 v[98:99], v[48:49], s[66:67], v[94:95] op_sel:[1,0,0] neg_lo:[1,0,0] neg_hi:[1,0,0]
	s_mov_b32 s6, s12
	v_mov_b32_e32 v51, v66
	v_pk_add_f32 v[66:67], v[20:21], v[32:33] neg_lo:[0,1] neg_hi:[0,1]
	v_pk_add_f32 v[68:69], v[20:21], v[32:33]
	v_mul_f32_e32 v20, 0xbeb58ec6, v56
	v_mul_f32_e32 v32, 0xbf6f5d39, v63
	v_pk_add_f32 v[86:87], v[98:99], v[86:87]
	v_pk_mul_f32 v[98:99], v[70:71], s[6:7] op_sel_hi:[0,1]
	v_mov_b32_e32 v67, v68
	v_pk_add_f32 v[68:69], v[20:21], v[32:33] neg_lo:[0,1] neg_hi:[0,1]
	v_pk_add_f32 v[70:71], v[20:21], v[32:33]
	v_mul_f32_e32 v20, 0x3df6dbef, v58
	v_mul_f32_e32 v32, 0x3f7e222b, v61
	v_mov_b32_e32 v69, v70
	v_pk_add_f32 v[70:71], v[20:21], v[32:33] neg_lo:[0,1] neg_hi:[0,1]
	v_pk_add_f32 v[74:75], v[20:21], v[32:33]
	v_mul_f32_e32 v20, 0xbe750f2a, v31
	v_mul_f32_e32 v32, 0xbf788fa5, v53
	v_mov_b32_e32 v71, v74
	v_pk_add_f32 v[74:75], v[32:33], v[20:21] neg_lo:[0,1] neg_hi:[0,1]
	v_pk_add_f32 v[76:77], v[32:33], v[20:21]
	v_pk_mul_f32 v[52:53], v[64:65], v[52:53]
	v_mov_b32_e32 v75, v76
	v_pk_add_f32 v[74:75], v[74:75], v[0:1] op_sel_hi:[1,0]
	v_fmac_f32_e32 v53, 0xbeedf032, v31
	v_pk_add_f32 v[54:55], v[54:55], v[74:75]
	v_pk_fma_f32 v[30:31], v[30:31], s[60:61], v[82:83] op_sel:[1,0,0]
	v_pk_add_f32 v[50:51], v[50:51], v[54:55]
	v_pk_fma_f32 v[46:47], v[46:47], s[62:63], v[90:91] op_sel:[1,0,0]
	v_pk_add_f32 v[50:51], v[66:67], v[50:51]
	v_pk_add_f32 v[30:31], v[30:31], v[0:1] op_sel_hi:[1,0]
	v_pk_add_f32 v[50:51], v[68:69], v[50:51]
	v_pk_fma_f32 v[48:49], v[48:49], s[66:67], v[94:95] op_sel:[1,0,0]
	v_pk_add_f32 v[50:51], v[70:71], v[50:51]
	v_pk_add_f32 v[30:31], v[46:47], v[30:31]
	v_pk_fma_f32 v[100:101], v[72:73], s[8:9], v[98:99] op_sel:[1,0,0] neg_lo:[1,0,0] neg_hi:[1,0,0]
	s_mov_b32 s58, s22
	s_mov_b32 s59, s18
	ds_write2_b32 v9, v50, v51 offset0:6 offset1:7
	v_pk_fma_f32 v[50:51], v[72:73], s[8:9], v[98:99] op_sel:[1,0,0]
	v_pk_add_f32 v[30:31], v[48:49], v[30:31]
	v_pk_add_f32 v[86:87], v[100:101], v[86:87]
	s_mov_b32 s21, s19
	v_pk_mul_f32 v[100:101], v[56:57], s[58:59] op_sel_hi:[0,1]
	v_pk_add_f32 v[46:47], v[50:51], v[30:31]
	v_add_f32_e32 v11, v81, v80
	v_add_f32_e32 v30, v53, v0
	v_pk_fma_f32 v[102:103], v[62:63], s[20:21], v[100:101] op_sel:[1,0,0] neg_lo:[1,0,0] neg_hi:[1,0,0]
	s_mov_b32 s64, s7
	s_mov_b32 s65, s12
	v_add_f32_e32 v13, v85, v84
	v_add_f32_e32 v11, v11, v30
	v_pk_add_f32 v[86:87], v[102:103], v[86:87]
	s_mov_b32 s68, s9
	s_mov_b32 s69, s13
	v_pk_mul_f32 v[102:103], v[58:59], s[64:65] op_sel_hi:[0,1]
	v_add_f32_e32 v15, v89, v88
	v_add_f32_e32 v11, v13, v11
	v_pk_fma_f32 v[48:49], v[62:63], s[20:21], v[100:101] op_sel:[1,0,0]
	v_pk_fma_f32 v[104:105], v[60:61], s[68:69], v[102:103] op_sel:[1,0,0] neg_lo:[1,0,0] neg_hi:[1,0,0]
	v_add_f32_e32 v17, v93, v92
	v_add_f32_e32 v11, v15, v11
	v_pk_fma_f32 v[50:51], v[60:61], s[68:69], v[102:103] op_sel:[1,0,0]
	v_pk_add_f32 v[46:47], v[48:49], v[46:47]
	s_movk_i32 s0, 0xffd0
	v_pk_add_f32 v[86:87], v[104:105], v[86:87]
	v_add_f32_e32 v20, v97, v96
	v_add_f32_e32 v11, v17, v11
	v_pk_add_f32 v[46:47], v[50:51], v[46:47]
	v_mad_i32_i24 v13, v4, s0, v9
	ds_write2_b32 v9, v86, v87 offset0:2 offset1:3
	s_load_dwordx2 s[2:3], s[2:3], 0x0
	v_add_f32_e32 v30, v20, v11
	ds_write2_b32 v9, v47, v46 offset0:10 offset1:11
	ds_write_b32 v9, v30 offset:48
	s_waitcnt lgkmcnt(0)
	; wave barrier
	s_waitcnt lgkmcnt(0)
	v_lshl_add_u32 v11, v4, 2, v5
	v_lshl_add_u32 v15, v16, 2, v5
	v_lshl_add_u32 v17, v10, 2, v5
	v_lshl_add_u32 v66, v8, 2, v5
	v_lshl_add_u32 v67, v12, 2, v5
	v_lshl_add_u32 v68, v14, 2, v5
	ds_read2_b32 v[54:55], v13 offset0:13 offset1:15
	ds_read2_b32 v[48:49], v13 offset0:17 offset1:19
	;; [unrolled: 1-line block ×3, first 2 shown]
	ds_read_b32 v50, v11
	ds_read_b32 v52, v15
	;; [unrolled: 1-line block ×6, first 2 shown]
	v_cmp_eq_u32_e64 s[0:1], 0, v4
	s_and_saveexec_b64 s[70:71], s[0:1]
	s_cbranch_execz .LBB0_15
; %bb.14:
	ds_read2_b32 v[30:31], v5 offset0:12 offset1:25
.LBB0_15:
	s_or_b64 exec, exec, s[70:71]
	v_add_f32_e32 v51, v45, v1
	v_add_f32_e32 v19, v19, v51
	v_mov_b32_e32 v72, v44
	v_mov_b32_e32 v73, v29
	;; [unrolled: 1-line block ×4, first 2 shown]
	v_add_f32_e32 v70, v29, v19
	v_pk_add_f32 v[72:73], v[72:73], v[74:75]
	v_mov_b32_e32 v74, v24
	v_mov_b32_e32 v75, v28
	;; [unrolled: 1-line block ×4, first 2 shown]
	v_pk_add_f32 v[28:29], v[74:75], v[28:29] neg_lo:[0,1] neg_hi:[0,1]
	v_mov_b32_e32 v74, v73
	v_mov_b32_e32 v75, v29
	v_pk_mul_f32 v[76:77], v[74:75], s[22:23]
	v_mov_b32_e32 v78, v72
	v_mov_b32_e32 v79, v28
	;; [unrolled: 1-line block ×3, first 2 shown]
	v_pk_mul_f32 v[80:81], v[78:79], s[14:15]
	v_pk_fma_f32 v[74:75], v[74:75], s[22:23], v[18:19]
	v_mov_b32_e32 v19, v80
	v_pk_fma_f32 v[78:79], v[78:79], s[14:15], v[18:19]
	v_mov_b32_e32 v19, v25
	v_mov_b32_e32 v24, v26
	;; [unrolled: 1-line block ×4, first 2 shown]
	v_pk_add_f32 v[24:25], v[18:19], v[24:25] neg_lo:[0,1] neg_hi:[0,1]
	v_pk_add_f32 v[44:45], v[44:45], v[70:71]
	v_mov_b32_e32 v64, v33
	v_mov_b32_e32 v78, v39
	;; [unrolled: 1-line block ×4, first 2 shown]
	v_pk_add_f32 v[70:71], v[64:65], v[44:45]
	v_pk_mul_f32 v[64:65], v[64:65], v[44:45]
	v_mov_b32_e32 v74, v41
	v_pk_mul_f32 v[40:41], v[38:39], s[18:19]
	v_mov_b32_e32 v71, v65
	v_mul_f32_e32 v19, 0xbeedf032, v25
	v_mov_b32_e32 v33, v40
	v_mov_b32_e32 v18, v21
	s_mov_b32 s22, s18
	v_mov_b32_e32 v82, v35
	v_mov_b32_e32 v83, v1
	s_waitcnt lgkmcnt(1)
	v_pk_fma_f32 v[38:39], v[38:39], s[18:19], v[32:33]
	s_mov_b32 s18, s9
	s_mov_b32 s19, s51
	v_pk_add_f32 v[18:19], v[18:19], v[70:71]
	v_sub_f32_e32 v22, v40, v41
	v_pk_mul_f32 v[40:41], v[24:25], s[18:19]
	v_mov_b32_e32 v84, v43
	v_mov_b32_e32 v85, v45
	s_mov_b32 s18, s7
	s_mov_b32 s19, s50
	v_pk_add_f32 v[18:19], v[82:83], v[18:19]
	v_mov_b32_e32 v38, v37
	v_pk_add_f32 v[18:19], v[38:39], v[18:19]
	v_fmac_f32_e32 v65, 0x3eedf032, v25
	v_pk_fma_f32 v[38:39], v[84:85], s[18:19], v[40:41]
	v_pk_fma_f32 v[40:41], v[84:85], s[18:19], v[40:41] neg_lo:[0,0,1] neg_hi:[0,0,1]
	v_add_f32_e32 v21, v65, v1
	v_add_f32_e32 v26, v39, v1
	;; [unrolled: 1-line block ×3, first 2 shown]
	v_sub_f32_e32 v51, v76, v77
	s_mov_b32 s70, s48
	s_mov_b32 s71, s13
	v_add_f32_e32 v21, v22, v21
	v_add_f32_e32 v22, v38, v26
	v_add_f32_e32 v26, v40, v33
	v_mov_b32_e32 v40, v57
	v_mov_b32_e32 v41, v62
	s_mov_b32 s23, s12
	v_pk_mul_f32 v[76:77], v[28:29], s[70:71]
	v_sub_f32_e32 v53, v80, v81
	v_add_f32_e32 v21, v51, v21
	v_pk_mul_f32 v[64:65], v[40:41], s[12:13]
	v_pk_fma_f32 v[80:81], v[72:73], s[22:23], v[76:77]
	v_pk_fma_f32 v[76:77], v[72:73], s[22:23], v[76:77] neg_lo:[0,0,1] neg_hi:[0,0,1]
	v_add_f32_e32 v33, v53, v21
	v_mov_b32_e32 v21, v64
	v_add_f32_e32 v26, v77, v26
	s_waitcnt lgkmcnt(0)
	v_pk_fma_f32 v[70:71], v[40:41], s[12:13], v[20:21]
	v_add_f32_e32 v39, v76, v26
	v_mov_b32_e32 v70, v27
	v_sub_f32_e32 v21, v64, v65
	v_pk_mul_f32 v[26:27], v[40:41], s[14:15]
	v_pk_add_f32 v[18:19], v[74:75], v[18:19]
	v_add_f32_e32 v33, v21, v33
	v_mov_b32_e32 v38, v27
	v_mov_b32_e32 v21, v26
	v_pk_add_f32 v[18:19], v[78:79], v[18:19]
	v_pk_fma_f32 v[64:65], v[40:41], s[14:15], v[38:39]
	v_pk_fma_f32 v[26:27], v[40:41], s[14:15], v[20:21] neg_lo:[1,0,0] neg_hi:[1,0,0]
	v_mov_b32_e32 v40, v59
	v_mov_b32_e32 v41, v60
	v_pk_add_f32 v[18:19], v[70:71], v[18:19]
	v_pk_mul_f32 v[70:71], v[40:41], s[50:51]
	v_pk_mul_f32 v[74:75], v[24:25], s[62:63] op_sel_hi:[0,1]
	v_mov_b32_e32 v21, v70
	v_pk_fma_f32 v[40:41], v[40:41], s[50:51], v[20:21]
	v_add_f32_e32 v22, v81, v22
	v_mov_b32_e32 v40, v23
	v_pk_add_f32 v[40:41], v[40:41], v[18:19]
	v_sub_f32_e32 v18, v70, v71
	v_pk_mul_f32 v[70:71], v[24:25], s[60:61] op_sel:[1,0]
	v_pk_fma_f32 v[76:77], v[42:43], s[52:53], v[74:75] op_sel:[1,0,0]
	v_pk_fma_f32 v[86:87], v[44:45], s[54:55], v[70:71] op_sel:[1,0,0]
	v_pk_mul_f32 v[78:79], v[28:29], s[66:67] op_sel:[1,0]
	v_pk_add_f32 v[86:87], v[86:87], v[0:1] op_sel:[0,1]
	v_pk_fma_f32 v[70:71], v[44:45], s[54:55], v[70:71] op_sel:[1,0,0] neg_lo:[0,0,1] neg_hi:[0,0,1]
	v_add_f32_e32 v22, v80, v22
	v_pk_fma_f32 v[80:81], v[72:73], s[56:57], v[78:79] op_sel:[1,0,0]
	v_pk_mul_f32 v[82:83], v[28:29], s[8:9] op_sel_hi:[0,1]
	v_pk_add_f32 v[76:77], v[76:77], v[86:87]
	v_pk_fma_f32 v[74:75], v[42:43], s[52:53], v[74:75] op_sel:[1,0,0] neg_lo:[0,0,1] neg_hi:[0,0,1]
	v_pk_add_f32 v[70:71], v[70:71], v[0:1] op_sel:[0,1]
	v_pk_fma_f32 v[84:85], v[72:73], s[6:7], v[82:83] op_sel_hi:[0,1,1]
	v_pk_add_f32 v[76:77], v[80:81], v[76:77]
	v_pk_mul_f32 v[80:81], v[62:63], s[20:21] op_sel_hi:[0,1]
	v_pk_fma_f32 v[78:79], v[72:73], s[56:57], v[78:79] op_sel:[1,0,0] neg_lo:[0,0,1] neg_hi:[0,0,1]
	v_pk_add_f32 v[70:71], v[74:75], v[70:71]
	v_pk_add_f32 v[76:77], v[84:85], v[76:77]
	v_pk_fma_f32 v[84:85], v[56:57], s[58:59], v[80:81] op_sel:[1,0,0]
	v_pk_fma_f32 v[82:83], v[72:73], s[6:7], v[82:83] op_sel_hi:[0,1,1] neg_lo:[0,0,1] neg_hi:[0,0,1]
	v_pk_add_f32 v[70:71], v[78:79], v[70:71]
	v_pk_add_f32 v[76:77], v[84:85], v[76:77]
	v_pk_mul_f32 v[84:85], v[60:61], s[68:69] op_sel_hi:[0,1]
	v_pk_add_f32 v[70:71], v[82:83], v[70:71]
	v_pk_fma_f32 v[74:75], v[56:57], s[58:59], v[80:81] op_sel:[1,0,0] neg_lo:[0,0,1] neg_hi:[0,0,1]
	v_pk_fma_f32 v[86:87], v[58:59], s[64:65], v[84:85] op_sel:[1,0,0]
	v_pk_add_f32 v[70:71], v[74:75], v[70:71]
	v_pk_fma_f32 v[74:75], v[58:59], s[64:65], v[84:85] op_sel:[1,0,0] neg_lo:[0,0,1] neg_hi:[0,0,1]
	v_pk_add_f32 v[76:77], v[86:87], v[76:77]
	v_pk_add_f32 v[70:71], v[74:75], v[70:71]
	v_pk_mul_f32 v[74:75], v[24:25], s[28:29] op_sel:[1,0]
	v_pk_mul_f32 v[24:25], v[24:25], s[30:31] op_sel_hi:[0,1]
	v_pk_fma_f32 v[86:87], v[44:45], s[34:35], v[74:75] op_sel:[1,0,0]
	v_pk_fma_f32 v[78:79], v[42:43], s[24:25], v[24:25] op_sel:[1,0,0]
	v_pk_mul_f32 v[80:81], v[28:29], s[40:41] op_sel:[1,0]
	v_pk_add_f32 v[86:87], v[86:87], v[0:1] op_sel:[0,1]
	v_pk_fma_f32 v[44:45], v[44:45], s[34:35], v[74:75] op_sel:[1,0,0] neg_lo:[0,0,1] neg_hi:[0,0,1]
	v_pk_fma_f32 v[82:83], v[72:73], s[26:27], v[80:81] op_sel:[1,0,0]
	v_pk_mul_f32 v[28:29], v[28:29], s[44:45] op_sel_hi:[0,1]
	v_pk_add_f32 v[78:79], v[78:79], v[86:87]
	v_pk_fma_f32 v[24:25], v[42:43], s[24:25], v[24:25] op_sel:[1,0,0] neg_lo:[0,0,1] neg_hi:[0,0,1]
	v_pk_add_f32 v[0:1], v[44:45], v[0:1] op_sel:[0,1]
	v_pk_fma_f32 v[84:85], v[72:73], s[36:37], v[28:29] op_sel_hi:[0,1,1]
	v_pk_add_f32 v[78:79], v[82:83], v[78:79]
	v_pk_mul_f32 v[62:63], v[62:63], s[46:47] op_sel_hi:[0,1]
	v_pk_fma_f32 v[42:43], v[72:73], s[26:27], v[80:81] op_sel:[1,0,0] neg_lo:[0,0,1] neg_hi:[0,0,1]
	v_pk_add_f32 v[0:1], v[24:25], v[0:1]
	v_pk_add_f32 v[78:79], v[84:85], v[78:79]
	v_pk_fma_f32 v[82:83], v[56:57], s[38:39], v[62:63] op_sel:[1,0,0]
	v_pk_fma_f32 v[28:29], v[72:73], s[36:37], v[28:29] op_sel_hi:[0,1,1] neg_lo:[0,0,1] neg_hi:[0,0,1]
	v_pk_add_f32 v[0:1], v[42:43], v[0:1]
	v_pk_add_f32 v[78:79], v[82:83], v[78:79]
	v_pk_mul_f32 v[82:83], v[60:61], s[48:49] op_sel_hi:[0,1]
	v_pk_add_f32 v[0:1], v[28:29], v[0:1]
	v_pk_fma_f32 v[24:25], v[56:57], s[38:39], v[62:63] op_sel:[1,0,0] neg_lo:[0,0,1] neg_hi:[0,0,1]
	v_mul_f32_e32 v38, 0x3df6dbef, v59
	v_mul_f32_e32 v26, 0x3f7e222b, v60
	v_pk_add_f32 v[0:1], v[24:25], v[0:1]
	v_pk_fma_f32 v[24:25], v[58:59], s[42:43], v[82:83] op_sel:[1,0,0] neg_lo:[0,0,1] neg_hi:[0,0,1]
	v_mov_b32_e32 v23, v38
	v_mov_b32_e32 v28, v64
	;; [unrolled: 1-line block ×3, first 2 shown]
	v_pk_add_f32 v[0:1], v[24:25], v[0:1]
	v_pk_add_f32 v[24:25], v[38:39], v[26:27]
	;; [unrolled: 1-line block ×3, first 2 shown]
	v_pk_add_f32 v[22:23], v[22:23], v[28:29] neg_lo:[0,1] neg_hi:[0,1]
	v_pk_fma_f32 v[84:85], v[58:59], s[42:43], v[82:83] op_sel:[1,0,0]
	v_mov_b32_e32 v27, v23
	v_pk_add_f32 v[22:23], v[24:25], v[26:27]
	v_add_f32_e32 v18, v18, v33
	v_pk_add_f32 v[78:79], v[84:85], v[78:79]
	s_waitcnt lgkmcnt(0)
	; wave barrier
	ds_write2_b32 v9, v40, v41 offset1:1
	ds_write2_b32 v9, v76, v77 offset0:2 offset1:3
	ds_write2_b32 v9, v78, v79 offset0:4 offset1:5
	;; [unrolled: 1-line block ×5, first 2 shown]
	ds_write_b32 v9, v18 offset:48
	s_waitcnt lgkmcnt(0)
	; wave barrier
	s_waitcnt lgkmcnt(0)
	ds_read2_b32 v[26:27], v13 offset0:13 offset1:15
	ds_read2_b32 v[24:25], v13 offset0:17 offset1:19
	;; [unrolled: 1-line block ×3, first 2 shown]
	ds_read_b32 v51, v11
	ds_read_b32 v53, v15
	;; [unrolled: 1-line block ×6, first 2 shown]
	v_mov_b64_e32 v[0:1], 0
	s_and_saveexec_b64 s[6:7], s[0:1]
	s_cbranch_execz .LBB0_17
; %bb.16:
	ds_read2_b32 v[18:19], v5 offset0:12 offset1:25
	v_mov_b64_e32 v[0:1], 12
.LBB0_17:
	s_or_b64 exec, exec, s[6:7]
	s_and_saveexec_b64 s[0:1], vcc
	s_cbranch_execz .LBB0_20
; %bb.18:
	v_mov_b32_e32 v15, 0
	v_mov_b32_e32 v5, v15
	v_mov_b32_e32 v17, v15
	v_lshl_add_u64 v[28:29], v[4:5], 3, s[4:5]
	v_lshl_add_u64 v[16:17], v[16:17], 3, s[4:5]
	global_load_dwordx2 v[38:39], v[28:29], off
	global_load_dwordx2 v[40:41], v[16:17], off
	v_mov_b32_e32 v11, v15
	v_lshl_add_u64 v[10:11], v[10:11], 3, s[4:5]
	global_load_dwordx2 v[10:11], v[10:11], off
	v_mul_lo_u32 v1, s3, v6
	v_mul_lo_u32 v5, s2, v7
	v_mad_u64_u32 v[6:7], s[0:1], s2, v6, 0
	s_mov_b32 s0, 0x4ec4ec4f
	v_add_u32_e32 v17, 2, v4
	v_mov_b32_e32 v9, v15
	v_add_u32_e32 v29, 4, v4
	v_add3_u32 v7, v7, v5, v1
	v_mul_hi_u32 v1, v4, s0
	v_mul_hi_u32 v5, v17, s0
	v_lshl_add_u64 v[8:9], v[8:9], 3, s[4:5]
	global_load_dwordx2 v[8:9], v[8:9], off
	v_lshl_add_u64 v[44:45], v[14:15], 3, s[4:5]
	v_mul_hi_u32 v14, v29, s0
	v_lshrrev_b32_e32 v1, 2, v1
	v_lshl_add_u64 v[6:7], v[6:7], 3, s[10:11]
	v_lshrrev_b32_e32 v5, 2, v5
	v_mov_b32_e32 v13, v15
	v_lshrrev_b32_e32 v15, 2, v14
	v_mul_lo_u32 v1, v1, 13
	v_lshl_add_u64 v[2:3], v[2:3], 3, v[6:7]
	v_mul_lo_u32 v6, v5, 13
	v_mul_lo_u32 v7, v15, 13
	v_sub_u32_e32 v1, v4, v1
	v_sub_u32_e32 v6, v17, v6
	;; [unrolled: 1-line block ×3, first 2 shown]
	v_mad_u64_u32 v[56:57], s[2:3], s16, v1, 0
	v_add_u32_e32 v17, 13, v1
	v_mad_u64_u32 v[6:7], s[2:3], v5, 26, v[6:7]
	v_mov_b32_e32 v58, v57
	v_mad_u64_u32 v[60:61], s[2:3], s16, v17, 0
	v_mad_u64_u32 v[62:63], s[2:3], s16, v6, 0
	v_mad_u64_u32 v[58:59], s[2:3], s17, v1, v[58:59]
	v_mov_b32_e32 v64, v61
	v_mov_b32_e32 v66, v63
	v_add_u32_e32 v5, 13, v6
	v_mov_b32_e32 v57, v58
	v_mad_u64_u32 v[58:59], s[2:3], s17, v17, v[64:65]
	v_mad_u64_u32 v[6:7], s[2:3], s17, v6, v[66:67]
	s_waitcnt lgkmcnt(8)
	v_mov_b32_e32 v42, v27
	v_mov_b32_e32 v61, v58
	;; [unrolled: 1-line block ×5, first 2 shown]
	v_mad_u64_u32 v[68:69], s[2:3], s16, v5, 0
	v_lshl_add_u64 v[58:59], v[60:61], 3, v[2:3]
	v_lshl_add_u64 v[60:61], v[62:63], 3, v[2:3]
	v_mov_b32_e32 v64, v69
	v_mad_u64_u32 v[6:7], s[2:3], s17, v5, v[64:65]
	v_lshl_add_u64 v[56:57], v[56:57], 3, v[2:3]
	v_mov_b32_e32 v69, v6
	v_lshl_add_u64 v[12:13], v[12:13], 3, s[4:5]
	v_lshl_add_u64 v[6:7], v[68:69], 3, v[2:3]
	s_waitcnt vmcnt(3)
	v_pk_mul_f32 v[26:27], v[26:27], v[38:39] op_sel:[0,1] op_sel_hi:[0,0]
	s_waitcnt vmcnt(2)
	v_pk_mul_f32 v[42:43], v[42:43], v[40:41] op_sel:[0,1] op_sel_hi:[0,0]
	v_pk_fma_f32 v[62:63], v[54:55], v[38:39], v[26:27] neg_lo:[0,0,1] neg_hi:[0,0,1]
	v_pk_fma_f32 v[26:27], v[54:55], v[38:39], v[26:27] op_sel_hi:[0,1,1]
	v_pk_fma_f32 v[16:17], v[16:17], v[40:41], v[42:43] neg_lo:[0,0,1] neg_hi:[0,0,1]
	v_pk_fma_f32 v[28:29], v[28:29], v[40:41], v[42:43] op_sel_hi:[0,1,1]
	v_mov_b32_e32 v63, v27
	v_mov_b32_e32 v17, v29
	s_waitcnt lgkmcnt(5)
	v_pk_add_f32 v[26:27], v[50:51], v[62:63] neg_lo:[0,1] neg_hi:[0,1]
	s_waitcnt lgkmcnt(4)
	v_pk_add_f32 v[16:17], v[52:53], v[16:17] neg_lo:[0,1] neg_hi:[0,1]
	v_pk_fma_f32 v[28:29], v[50:51], 2.0, v[26:27] op_sel_hi:[1,0,1] neg_lo:[0,0,1] neg_hi:[0,0,1]
	v_pk_fma_f32 v[38:39], v[52:53], 2.0, v[16:17] op_sel_hi:[1,0,1] neg_lo:[0,0,1] neg_hi:[0,0,1]
	global_store_dwordx2 v[56:57], v[28:29], off
	global_store_dwordx2 v[58:59], v[26:27], off
	;; [unrolled: 1-line block ×4, first 2 shown]
	global_load_dwordx2 v[12:13], v[12:13], off
	v_mad_u64_u32 v[6:7], s[2:3], v15, 26, v[14:15]
	v_mad_u64_u32 v[14:15], s[2:3], s16, v6, 0
	v_mov_b32_e32 v16, v15
	v_add_u32_e32 v1, 13, v6
	v_mad_u64_u32 v[16:17], s[2:3], s17, v6, v[16:17]
	v_mad_u64_u32 v[6:7], s[2:3], s16, v1, 0
	v_mov_b32_e32 v15, v16
	v_mov_b32_e32 v16, v7
	v_mad_u64_u32 v[16:17], s[2:3], s17, v1, v[16:17]
	v_mov_b32_e32 v7, v16
	s_waitcnt vmcnt(6)
	v_pk_mul_f32 v[16:17], v[24:25], v[10:11] op_sel:[0,1] op_sel_hi:[0,0]
	v_pk_fma_f32 v[26:27], v[48:49], v[10:11], v[16:17] neg_lo:[0,0,1] neg_hi:[0,0,1]
	v_pk_fma_f32 v[10:11], v[48:49], v[10:11], v[16:17] op_sel_hi:[0,1,1]
	v_mov_b32_e32 v27, v11
	s_waitcnt lgkmcnt(3)
	v_pk_add_f32 v[10:11], v[36:37], v[26:27] neg_lo:[0,1] neg_hi:[0,1]
	v_lshl_add_u64 v[14:15], v[14:15], 3, v[2:3]
	v_pk_fma_f32 v[16:17], v[36:37], 2.0, v[10:11] op_sel_hi:[1,0,1] neg_lo:[0,0,1] neg_hi:[0,0,1]
	v_lshl_add_u64 v[6:7], v[6:7], 3, v[2:3]
	global_store_dwordx2 v[14:15], v[16:17], off
	global_store_dwordx2 v[6:7], v[10:11], off
	global_load_dwordx2 v[14:15], v[44:45], off
	v_add_u32_e32 v1, 6, v4
	v_mul_hi_u32 v5, v1, s0
	v_lshrrev_b32_e32 v5, 2, v5
	v_mul_lo_u32 v6, v5, 13
	v_sub_u32_e32 v6, v1, v6
	v_mad_u64_u32 v[6:7], s[2:3], v5, 26, v[6:7]
	v_mad_u64_u32 v[10:11], s[2:3], s16, v6, 0
	v_mov_b32_e32 v16, v11
	v_add_u32_e32 v1, 13, v6
	v_mad_u64_u32 v[16:17], s[2:3], s17, v6, v[16:17]
	v_mad_u64_u32 v[6:7], s[2:3], s16, v1, 0
	v_mov_b32_e32 v11, v16
	v_mov_b32_e32 v16, v7
	v_mad_u64_u32 v[16:17], s[2:3], s17, v1, v[16:17]
	v_mov_b32_e32 v26, v25
	v_mov_b32_e32 v7, v16
	v_mov_b32_e32 v16, v49
	v_mov_b32_e32 v24, v49
	s_waitcnt vmcnt(8)
	v_pk_mul_f32 v[26:27], v[26:27], v[8:9] op_sel:[0,1] op_sel_hi:[0,0]
	v_pk_fma_f32 v[16:17], v[16:17], v[8:9], v[26:27] neg_lo:[0,0,1] neg_hi:[0,0,1]
	v_pk_fma_f32 v[8:9], v[24:25], v[8:9], v[26:27] op_sel_hi:[0,1,1]
	v_mov_b32_e32 v17, v9
	v_add_u32_e32 v1, 8, v4
	s_waitcnt lgkmcnt(2)
	v_pk_add_f32 v[8:9], v[34:35], v[16:17] neg_lo:[0,1] neg_hi:[0,1]
	v_mul_hi_u32 v5, v1, s0
	v_lshl_add_u64 v[10:11], v[10:11], 3, v[2:3]
	v_lshl_add_u64 v[6:7], v[6:7], 3, v[2:3]
	v_pk_fma_f32 v[16:17], v[34:35], 2.0, v[8:9] op_sel_hi:[1,0,1] neg_lo:[0,0,1] neg_hi:[0,0,1]
	v_lshrrev_b32_e32 v5, 2, v5
	global_store_dwordx2 v[10:11], v[16:17], off
	global_store_dwordx2 v[6:7], v[8:9], off
	v_mul_lo_u32 v6, v5, 13
	v_sub_u32_e32 v6, v1, v6
	v_mad_u64_u32 v[6:7], s[2:3], v5, 26, v[6:7]
	v_mad_u64_u32 v[8:9], s[2:3], s16, v6, 0
	v_mov_b32_e32 v10, v9
	v_add_u32_e32 v1, 13, v6
	v_mad_u64_u32 v[10:11], s[2:3], s17, v6, v[10:11]
	v_mad_u64_u32 v[6:7], s[2:3], s16, v1, 0
	v_mov_b32_e32 v9, v10
	v_mov_b32_e32 v10, v7
	v_mad_u64_u32 v[10:11], s[2:3], s17, v1, v[10:11]
	v_mov_b32_e32 v7, v10
	v_add_u32_e32 v1, 10, v4
	v_mul_hi_u32 v5, v1, s0
	s_waitcnt vmcnt(5)
	v_pk_mul_f32 v[10:11], v[22:23], v[12:13] op_sel:[0,1] op_sel_hi:[0,0]
	v_pk_fma_f32 v[16:17], v[46:47], v[12:13], v[10:11] neg_lo:[0,0,1] neg_hi:[0,0,1]
	v_pk_fma_f32 v[10:11], v[46:47], v[12:13], v[10:11] op_sel_hi:[0,1,1]
	v_mov_b32_e32 v17, v11
	s_waitcnt lgkmcnt(1)
	v_pk_add_f32 v[10:11], v[32:33], v[16:17] neg_lo:[0,1] neg_hi:[0,1]
	v_lshl_add_u64 v[8:9], v[8:9], 3, v[2:3]
	v_lshl_add_u64 v[6:7], v[6:7], 3, v[2:3]
	v_pk_fma_f32 v[12:13], v[32:33], 2.0, v[10:11] op_sel_hi:[1,0,1] neg_lo:[0,0,1] neg_hi:[0,0,1]
	v_lshrrev_b32_e32 v5, 2, v5
	global_store_dwordx2 v[8:9], v[12:13], off
	global_store_dwordx2 v[6:7], v[10:11], off
	v_mul_lo_u32 v6, v5, 13
	v_sub_u32_e32 v6, v1, v6
	v_mad_u64_u32 v[6:7], s[0:1], v5, 26, v[6:7]
	v_mad_u64_u32 v[8:9], s[0:1], s16, v6, 0
	v_mov_b32_e32 v10, v9
	v_add_u32_e32 v1, 13, v6
	v_mad_u64_u32 v[10:11], s[0:1], s17, v6, v[10:11]
	v_mad_u64_u32 v[6:7], s[0:1], s16, v1, 0
	v_mov_b32_e32 v9, v10
	v_mov_b32_e32 v10, v7
	v_mad_u64_u32 v[10:11], s[0:1], s17, v1, v[10:11]
	v_mov_b32_e32 v16, v23
	v_mov_b32_e32 v7, v10
	;; [unrolled: 1-line block ×4, first 2 shown]
	s_waitcnt vmcnt(4)
	v_pk_mul_f32 v[16:17], v[16:17], v[14:15] op_sel:[0,1] op_sel_hi:[0,0]
	v_pk_fma_f32 v[10:11], v[10:11], v[14:15], v[16:17] neg_lo:[0,0,1] neg_hi:[0,0,1]
	v_pk_fma_f32 v[12:13], v[12:13], v[14:15], v[16:17] op_sel_hi:[0,1,1]
	v_mov_b32_e32 v11, v13
	s_waitcnt lgkmcnt(0)
	v_pk_add_f32 v[10:11], v[20:21], v[10:11] neg_lo:[0,1] neg_hi:[0,1]
	v_add_u32_e32 v1, 12, v4
	v_lshl_add_u64 v[8:9], v[8:9], 3, v[2:3]
	v_pk_fma_f32 v[12:13], v[20:21], 2.0, v[10:11] op_sel_hi:[1,0,1] neg_lo:[0,0,1] neg_hi:[0,0,1]
	v_cmp_gt_u32_e32 vcc, 13, v1
	v_lshl_add_u64 v[6:7], v[6:7], 3, v[2:3]
	global_store_dwordx2 v[8:9], v[12:13], off
	global_store_dwordx2 v[6:7], v[10:11], off
	s_and_b64 exec, exec, vcc
	s_cbranch_execz .LBB0_20
; %bb.19:
	v_lshlrev_b32_e32 v0, 3, v0
	global_load_dwordx2 v[6:7], v0, s[4:5]
	v_mad_u64_u32 v[12:13], s[0:1], s16, v1, 0
	v_add_u32_e32 v9, 25, v4
	v_mov_b32_e32 v4, v13
	v_mad_u64_u32 v[14:15], s[0:1], s16, v9, 0
	v_mov_b32_e32 v0, v19
	v_mad_u64_u32 v[4:5], s[0:1], s17, v1, v[4:5]
	v_mov_b32_e32 v16, v15
	v_mov_b32_e32 v8, v31
	;; [unrolled: 1-line block ×4, first 2 shown]
	v_mad_u64_u32 v[4:5], s[0:1], s17, v9, v[16:17]
	v_mov_b32_e32 v15, v4
	v_mov_b32_e32 v31, v18
	v_lshl_add_u64 v[12:13], v[12:13], 3, v[2:3]
	v_lshl_add_u64 v[2:3], v[14:15], 3, v[2:3]
	s_waitcnt vmcnt(0)
	v_pk_mul_f32 v[0:1], v[0:1], v[6:7] op_sel_hi:[0,1]
	v_pk_fma_f32 v[4:5], v[8:9], v[6:7], v[0:1] op_sel:[0,0,1] op_sel_hi:[1,1,0] neg_lo:[0,0,1] neg_hi:[0,0,1]
	v_pk_fma_f32 v[0:1], v[10:11], v[6:7], v[0:1] op_sel:[0,0,1] op_sel_hi:[0,1,0]
	v_mov_b32_e32 v5, v1
	v_pk_add_f32 v[0:1], v[30:31], v[4:5] neg_lo:[0,1] neg_hi:[0,1]
	s_nop 0
	v_pk_fma_f32 v[4:5], v[30:31], 2.0, v[0:1] op_sel_hi:[1,0,1] neg_lo:[0,0,1] neg_hi:[0,0,1]
	global_store_dwordx2 v[12:13], v[4:5], off
	global_store_dwordx2 v[2:3], v[0:1], off
.LBB0_20:
	s_endpgm
	.section	.rodata,"a",@progbits
	.p2align	6, 0x0
	.amdhsa_kernel fft_rtc_fwd_len26_factors_13_2_wgs_64_tpt_2_halfLds_sp_op_CI_CI_sbrr_dirReg
		.amdhsa_group_segment_fixed_size 0
		.amdhsa_private_segment_fixed_size 0
		.amdhsa_kernarg_size 104
		.amdhsa_user_sgpr_count 2
		.amdhsa_user_sgpr_dispatch_ptr 0
		.amdhsa_user_sgpr_queue_ptr 0
		.amdhsa_user_sgpr_kernarg_segment_ptr 1
		.amdhsa_user_sgpr_dispatch_id 0
		.amdhsa_user_sgpr_kernarg_preload_length 0
		.amdhsa_user_sgpr_kernarg_preload_offset 0
		.amdhsa_user_sgpr_private_segment_size 0
		.amdhsa_uses_dynamic_stack 0
		.amdhsa_enable_private_segment 0
		.amdhsa_system_sgpr_workgroup_id_x 1
		.amdhsa_system_sgpr_workgroup_id_y 0
		.amdhsa_system_sgpr_workgroup_id_z 0
		.amdhsa_system_sgpr_workgroup_info 0
		.amdhsa_system_vgpr_workitem_id 0
		.amdhsa_next_free_vgpr 106
		.amdhsa_next_free_sgpr 72
		.amdhsa_accum_offset 108
		.amdhsa_reserve_vcc 1
		.amdhsa_float_round_mode_32 0
		.amdhsa_float_round_mode_16_64 0
		.amdhsa_float_denorm_mode_32 3
		.amdhsa_float_denorm_mode_16_64 3
		.amdhsa_dx10_clamp 1
		.amdhsa_ieee_mode 1
		.amdhsa_fp16_overflow 0
		.amdhsa_tg_split 0
		.amdhsa_exception_fp_ieee_invalid_op 0
		.amdhsa_exception_fp_denorm_src 0
		.amdhsa_exception_fp_ieee_div_zero 0
		.amdhsa_exception_fp_ieee_overflow 0
		.amdhsa_exception_fp_ieee_underflow 0
		.amdhsa_exception_fp_ieee_inexact 0
		.amdhsa_exception_int_div_zero 0
	.end_amdhsa_kernel
	.text
.Lfunc_end0:
	.size	fft_rtc_fwd_len26_factors_13_2_wgs_64_tpt_2_halfLds_sp_op_CI_CI_sbrr_dirReg, .Lfunc_end0-fft_rtc_fwd_len26_factors_13_2_wgs_64_tpt_2_halfLds_sp_op_CI_CI_sbrr_dirReg
                                        ; -- End function
	.section	.AMDGPU.csdata,"",@progbits
; Kernel info:
; codeLenInByte = 6356
; NumSgprs: 78
; NumVgprs: 106
; NumAgprs: 0
; TotalNumVgprs: 106
; ScratchSize: 0
; MemoryBound: 0
; FloatMode: 240
; IeeeMode: 1
; LDSByteSize: 0 bytes/workgroup (compile time only)
; SGPRBlocks: 9
; VGPRBlocks: 13
; NumSGPRsForWavesPerEU: 78
; NumVGPRsForWavesPerEU: 106
; AccumOffset: 108
; Occupancy: 4
; WaveLimiterHint : 1
; COMPUTE_PGM_RSRC2:SCRATCH_EN: 0
; COMPUTE_PGM_RSRC2:USER_SGPR: 2
; COMPUTE_PGM_RSRC2:TRAP_HANDLER: 0
; COMPUTE_PGM_RSRC2:TGID_X_EN: 1
; COMPUTE_PGM_RSRC2:TGID_Y_EN: 0
; COMPUTE_PGM_RSRC2:TGID_Z_EN: 0
; COMPUTE_PGM_RSRC2:TIDIG_COMP_CNT: 0
; COMPUTE_PGM_RSRC3_GFX90A:ACCUM_OFFSET: 26
; COMPUTE_PGM_RSRC3_GFX90A:TG_SPLIT: 0
	.text
	.p2alignl 6, 3212836864
	.fill 256, 4, 3212836864
	.type	__hip_cuid_9393c92de6a49394,@object ; @__hip_cuid_9393c92de6a49394
	.section	.bss,"aw",@nobits
	.globl	__hip_cuid_9393c92de6a49394
__hip_cuid_9393c92de6a49394:
	.byte	0                               ; 0x0
	.size	__hip_cuid_9393c92de6a49394, 1

	.ident	"AMD clang version 19.0.0git (https://github.com/RadeonOpenCompute/llvm-project roc-6.4.0 25133 c7fe45cf4b819c5991fe208aaa96edf142730f1d)"
	.section	".note.GNU-stack","",@progbits
	.addrsig
	.addrsig_sym __hip_cuid_9393c92de6a49394
	.amdgpu_metadata
---
amdhsa.kernels:
  - .agpr_count:     0
    .args:
      - .actual_access:  read_only
        .address_space:  global
        .offset:         0
        .size:           8
        .value_kind:     global_buffer
      - .offset:         8
        .size:           8
        .value_kind:     by_value
      - .actual_access:  read_only
        .address_space:  global
        .offset:         16
        .size:           8
        .value_kind:     global_buffer
      - .actual_access:  read_only
        .address_space:  global
        .offset:         24
        .size:           8
        .value_kind:     global_buffer
      - .actual_access:  read_only
        .address_space:  global
        .offset:         32
        .size:           8
        .value_kind:     global_buffer
      - .offset:         40
        .size:           8
        .value_kind:     by_value
      - .actual_access:  read_only
        .address_space:  global
        .offset:         48
        .size:           8
        .value_kind:     global_buffer
      - .actual_access:  read_only
        .address_space:  global
        .offset:         56
        .size:           8
        .value_kind:     global_buffer
      - .offset:         64
        .size:           4
        .value_kind:     by_value
      - .actual_access:  read_only
        .address_space:  global
        .offset:         72
        .size:           8
        .value_kind:     global_buffer
      - .actual_access:  read_only
        .address_space:  global
        .offset:         80
        .size:           8
        .value_kind:     global_buffer
      - .actual_access:  read_only
        .address_space:  global
        .offset:         88
        .size:           8
        .value_kind:     global_buffer
      - .actual_access:  write_only
        .address_space:  global
        .offset:         96
        .size:           8
        .value_kind:     global_buffer
    .group_segment_fixed_size: 0
    .kernarg_segment_align: 8
    .kernarg_segment_size: 104
    .language:       OpenCL C
    .language_version:
      - 2
      - 0
    .max_flat_workgroup_size: 64
    .name:           fft_rtc_fwd_len26_factors_13_2_wgs_64_tpt_2_halfLds_sp_op_CI_CI_sbrr_dirReg
    .private_segment_fixed_size: 0
    .sgpr_count:     78
    .sgpr_spill_count: 0
    .symbol:         fft_rtc_fwd_len26_factors_13_2_wgs_64_tpt_2_halfLds_sp_op_CI_CI_sbrr_dirReg.kd
    .uniform_work_group_size: 1
    .uses_dynamic_stack: false
    .vgpr_count:     106
    .vgpr_spill_count: 0
    .wavefront_size: 64
amdhsa.target:   amdgcn-amd-amdhsa--gfx950
amdhsa.version:
  - 1
  - 2
...

	.end_amdgpu_metadata
